;; amdgpu-corpus repo=ROCm/rocFFT kind=compiled arch=gfx906 opt=O3
	.text
	.amdgcn_target "amdgcn-amd-amdhsa--gfx906"
	.amdhsa_code_object_version 6
	.protected	fft_rtc_fwd_len1872_factors_13_3_4_6_2_wgs_156_tpt_156_halfLds_half_ip_CI_sbrr_dirReg ; -- Begin function fft_rtc_fwd_len1872_factors_13_3_4_6_2_wgs_156_tpt_156_halfLds_half_ip_CI_sbrr_dirReg
	.globl	fft_rtc_fwd_len1872_factors_13_3_4_6_2_wgs_156_tpt_156_halfLds_half_ip_CI_sbrr_dirReg
	.p2align	8
	.type	fft_rtc_fwd_len1872_factors_13_3_4_6_2_wgs_156_tpt_156_halfLds_half_ip_CI_sbrr_dirReg,@function
fft_rtc_fwd_len1872_factors_13_3_4_6_2_wgs_156_tpt_156_halfLds_half_ip_CI_sbrr_dirReg: ; @fft_rtc_fwd_len1872_factors_13_3_4_6_2_wgs_156_tpt_156_halfLds_half_ip_CI_sbrr_dirReg
; %bb.0:
	s_load_dwordx2 s[2:3], s[4:5], 0x18
	s_load_dwordx4 s[8:11], s[4:5], 0x0
	s_load_dwordx2 s[14:15], s[4:5], 0x50
	v_mul_u32_u24_e32 v1, 0x1a5, v0
	v_add_u32_sdwa v5, s6, v1 dst_sel:DWORD dst_unused:UNUSED_PAD src0_sel:DWORD src1_sel:WORD_1
	s_waitcnt lgkmcnt(0)
	s_load_dwordx2 s[12:13], s[2:3], 0x0
	v_cmp_lt_u64_e64 s[0:1], s[10:11], 2
	v_mov_b32_e32 v3, 0
	v_mov_b32_e32 v1, 0
	;; [unrolled: 1-line block ×3, first 2 shown]
	s_and_b64 vcc, exec, s[0:1]
	v_mov_b32_e32 v2, 0
	s_cbranch_vccnz .LBB0_8
; %bb.1:
	s_load_dwordx2 s[0:1], s[4:5], 0x10
	s_add_u32 s6, s2, 8
	s_addc_u32 s7, s3, 0
	v_mov_b32_e32 v1, 0
	v_mov_b32_e32 v2, 0
	s_waitcnt lgkmcnt(0)
	s_add_u32 s16, s0, 8
	s_addc_u32 s17, s1, 0
	s_mov_b64 s[18:19], 1
.LBB0_2:                                ; =>This Inner Loop Header: Depth=1
	s_load_dwordx2 s[20:21], s[16:17], 0x0
                                        ; implicit-def: $vgpr7_vgpr8
	s_waitcnt lgkmcnt(0)
	v_or_b32_e32 v4, s21, v6
	v_cmp_ne_u64_e32 vcc, 0, v[3:4]
	s_and_saveexec_b64 s[0:1], vcc
	s_xor_b64 s[22:23], exec, s[0:1]
	s_cbranch_execz .LBB0_4
; %bb.3:                                ;   in Loop: Header=BB0_2 Depth=1
	v_cvt_f32_u32_e32 v4, s20
	v_cvt_f32_u32_e32 v7, s21
	s_sub_u32 s0, 0, s20
	s_subb_u32 s1, 0, s21
	v_mac_f32_e32 v4, 0x4f800000, v7
	v_rcp_f32_e32 v4, v4
	v_mul_f32_e32 v4, 0x5f7ffffc, v4
	v_mul_f32_e32 v7, 0x2f800000, v4
	v_trunc_f32_e32 v7, v7
	v_mac_f32_e32 v4, 0xcf800000, v7
	v_cvt_u32_f32_e32 v7, v7
	v_cvt_u32_f32_e32 v4, v4
	v_mul_lo_u32 v8, s0, v7
	v_mul_hi_u32 v9, s0, v4
	v_mul_lo_u32 v11, s1, v4
	v_mul_lo_u32 v10, s0, v4
	v_add_u32_e32 v8, v9, v8
	v_add_u32_e32 v8, v8, v11
	v_mul_hi_u32 v9, v4, v10
	v_mul_lo_u32 v11, v4, v8
	v_mul_hi_u32 v13, v4, v8
	v_mul_hi_u32 v12, v7, v10
	v_mul_lo_u32 v10, v7, v10
	v_mul_hi_u32 v14, v7, v8
	v_add_co_u32_e32 v9, vcc, v9, v11
	v_addc_co_u32_e32 v11, vcc, 0, v13, vcc
	v_mul_lo_u32 v8, v7, v8
	v_add_co_u32_e32 v9, vcc, v9, v10
	v_addc_co_u32_e32 v9, vcc, v11, v12, vcc
	v_addc_co_u32_e32 v10, vcc, 0, v14, vcc
	v_add_co_u32_e32 v8, vcc, v9, v8
	v_addc_co_u32_e32 v9, vcc, 0, v10, vcc
	v_add_co_u32_e32 v4, vcc, v4, v8
	v_addc_co_u32_e32 v7, vcc, v7, v9, vcc
	v_mul_lo_u32 v8, s0, v7
	v_mul_hi_u32 v9, s0, v4
	v_mul_lo_u32 v10, s1, v4
	v_mul_lo_u32 v11, s0, v4
	v_add_u32_e32 v8, v9, v8
	v_add_u32_e32 v8, v8, v10
	v_mul_lo_u32 v12, v4, v8
	v_mul_hi_u32 v13, v4, v11
	v_mul_hi_u32 v14, v4, v8
	;; [unrolled: 1-line block ×3, first 2 shown]
	v_mul_lo_u32 v11, v7, v11
	v_mul_hi_u32 v9, v7, v8
	v_add_co_u32_e32 v12, vcc, v13, v12
	v_addc_co_u32_e32 v13, vcc, 0, v14, vcc
	v_mul_lo_u32 v8, v7, v8
	v_add_co_u32_e32 v11, vcc, v12, v11
	v_addc_co_u32_e32 v10, vcc, v13, v10, vcc
	v_addc_co_u32_e32 v9, vcc, 0, v9, vcc
	v_add_co_u32_e32 v8, vcc, v10, v8
	v_addc_co_u32_e32 v9, vcc, 0, v9, vcc
	v_add_co_u32_e32 v4, vcc, v4, v8
	v_addc_co_u32_e32 v9, vcc, v7, v9, vcc
	v_mad_u64_u32 v[7:8], s[0:1], v5, v9, 0
	v_mul_hi_u32 v10, v5, v4
	v_add_co_u32_e32 v11, vcc, v10, v7
	v_addc_co_u32_e32 v12, vcc, 0, v8, vcc
	v_mad_u64_u32 v[7:8], s[0:1], v6, v4, 0
	v_mad_u64_u32 v[9:10], s[0:1], v6, v9, 0
	v_add_co_u32_e32 v4, vcc, v11, v7
	v_addc_co_u32_e32 v4, vcc, v12, v8, vcc
	v_addc_co_u32_e32 v7, vcc, 0, v10, vcc
	v_add_co_u32_e32 v4, vcc, v4, v9
	v_addc_co_u32_e32 v9, vcc, 0, v7, vcc
	v_mul_lo_u32 v10, s21, v4
	v_mul_lo_u32 v11, s20, v9
	v_mad_u64_u32 v[7:8], s[0:1], s20, v4, 0
	v_add3_u32 v8, v8, v11, v10
	v_sub_u32_e32 v10, v6, v8
	v_mov_b32_e32 v11, s21
	v_sub_co_u32_e32 v7, vcc, v5, v7
	v_subb_co_u32_e64 v10, s[0:1], v10, v11, vcc
	v_subrev_co_u32_e64 v11, s[0:1], s20, v7
	v_subbrev_co_u32_e64 v10, s[0:1], 0, v10, s[0:1]
	v_cmp_le_u32_e64 s[0:1], s21, v10
	v_cndmask_b32_e64 v12, 0, -1, s[0:1]
	v_cmp_le_u32_e64 s[0:1], s20, v11
	v_cndmask_b32_e64 v11, 0, -1, s[0:1]
	v_cmp_eq_u32_e64 s[0:1], s21, v10
	v_cndmask_b32_e64 v10, v12, v11, s[0:1]
	v_add_co_u32_e64 v11, s[0:1], 2, v4
	v_addc_co_u32_e64 v12, s[0:1], 0, v9, s[0:1]
	v_add_co_u32_e64 v13, s[0:1], 1, v4
	v_addc_co_u32_e64 v14, s[0:1], 0, v9, s[0:1]
	v_subb_co_u32_e32 v8, vcc, v6, v8, vcc
	v_cmp_ne_u32_e64 s[0:1], 0, v10
	v_cmp_le_u32_e32 vcc, s21, v8
	v_cndmask_b32_e64 v10, v14, v12, s[0:1]
	v_cndmask_b32_e64 v12, 0, -1, vcc
	v_cmp_le_u32_e32 vcc, s20, v7
	v_cndmask_b32_e64 v7, 0, -1, vcc
	v_cmp_eq_u32_e32 vcc, s21, v8
	v_cndmask_b32_e32 v7, v12, v7, vcc
	v_cmp_ne_u32_e32 vcc, 0, v7
	v_cndmask_b32_e64 v7, v13, v11, s[0:1]
	v_cndmask_b32_e32 v8, v9, v10, vcc
	v_cndmask_b32_e32 v7, v4, v7, vcc
.LBB0_4:                                ;   in Loop: Header=BB0_2 Depth=1
	s_andn2_saveexec_b64 s[0:1], s[22:23]
	s_cbranch_execz .LBB0_6
; %bb.5:                                ;   in Loop: Header=BB0_2 Depth=1
	v_cvt_f32_u32_e32 v4, s20
	s_sub_i32 s22, 0, s20
	v_rcp_iflag_f32_e32 v4, v4
	v_mul_f32_e32 v4, 0x4f7ffffe, v4
	v_cvt_u32_f32_e32 v4, v4
	v_mul_lo_u32 v7, s22, v4
	v_mul_hi_u32 v7, v4, v7
	v_add_u32_e32 v4, v4, v7
	v_mul_hi_u32 v4, v5, v4
	v_mul_lo_u32 v7, v4, s20
	v_add_u32_e32 v8, 1, v4
	v_sub_u32_e32 v7, v5, v7
	v_subrev_u32_e32 v9, s20, v7
	v_cmp_le_u32_e32 vcc, s20, v7
	v_cndmask_b32_e32 v7, v7, v9, vcc
	v_cndmask_b32_e32 v4, v4, v8, vcc
	v_add_u32_e32 v8, 1, v4
	v_cmp_le_u32_e32 vcc, s20, v7
	v_cndmask_b32_e32 v7, v4, v8, vcc
	v_mov_b32_e32 v8, v3
.LBB0_6:                                ;   in Loop: Header=BB0_2 Depth=1
	s_or_b64 exec, exec, s[0:1]
	v_mul_lo_u32 v4, v8, s20
	v_mul_lo_u32 v11, v7, s21
	v_mad_u64_u32 v[9:10], s[0:1], v7, s20, 0
	s_load_dwordx2 s[0:1], s[6:7], 0x0
	s_add_u32 s18, s18, 1
	v_add3_u32 v4, v10, v11, v4
	v_sub_co_u32_e32 v5, vcc, v5, v9
	v_subb_co_u32_e32 v4, vcc, v6, v4, vcc
	s_waitcnt lgkmcnt(0)
	v_mul_lo_u32 v4, s0, v4
	v_mul_lo_u32 v6, s1, v5
	v_mad_u64_u32 v[1:2], s[0:1], s0, v5, v[1:2]
	s_addc_u32 s19, s19, 0
	s_add_u32 s6, s6, 8
	v_add3_u32 v2, v6, v2, v4
	v_mov_b32_e32 v4, s10
	v_mov_b32_e32 v5, s11
	s_addc_u32 s7, s7, 0
	v_cmp_ge_u64_e32 vcc, s[18:19], v[4:5]
	s_add_u32 s16, s16, 8
	s_addc_u32 s17, s17, 0
	s_cbranch_vccnz .LBB0_9
; %bb.7:                                ;   in Loop: Header=BB0_2 Depth=1
	v_mov_b32_e32 v5, v7
	v_mov_b32_e32 v6, v8
	s_branch .LBB0_2
.LBB0_8:
	v_mov_b32_e32 v8, v6
	v_mov_b32_e32 v7, v5
.LBB0_9:
	s_lshl_b64 s[0:1], s[10:11], 3
	s_add_u32 s0, s2, s0
	s_addc_u32 s1, s3, s1
	s_load_dwordx2 s[2:3], s[0:1], 0x0
	s_load_dwordx2 s[6:7], s[4:5], 0x20
                                        ; implicit-def: $vgpr14
                                        ; implicit-def: $vgpr15
                                        ; implicit-def: $vgpr6
                                        ; implicit-def: $vgpr16
                                        ; implicit-def: $vgpr17
                                        ; implicit-def: $vgpr19
                                        ; implicit-def: $vgpr9
                                        ; implicit-def: $vgpr20
                                        ; implicit-def: $vgpr10
                                        ; implicit-def: $vgpr21
                                        ; implicit-def: $vgpr11
                                        ; implicit-def: $vgpr24
                                        ; implicit-def: $vgpr12
                                        ; implicit-def: $vgpr26
                                        ; implicit-def: $vgpr13
                                        ; implicit-def: $vgpr28
                                        ; implicit-def: $vgpr18
                                        ; implicit-def: $vgpr29
                                        ; implicit-def: $vgpr22
                                        ; implicit-def: $vgpr31
                                        ; implicit-def: $vgpr25
	s_waitcnt lgkmcnt(0)
	v_mad_u64_u32 v[2:3], s[0:1], s2, v7, v[1:2]
	s_mov_b32 s0, 0x1a41a42
	v_mul_hi_u32 v1, v0, s0
	v_mul_lo_u32 v4, s2, v8
	v_mul_lo_u32 v5, s3, v7
	v_cmp_gt_u64_e32 vcc, s[6:7], v[7:8]
	v_mul_u32_u24_e32 v1, 0x9c, v1
	v_sub_u32_e32 v0, v0, v1
	v_add3_u32 v3, v5, v3, v4
	s_movk_i32 s0, 0x90
	v_cmp_gt_u32_e64 s[0:1], s0, v0
	v_lshlrev_b64 v[2:3], 2, v[2:3]
	s_and_b64 s[2:3], vcc, s[0:1]
	v_mov_b32_e32 v1, 0
	v_mov_b32_e32 v4, 0
                                        ; implicit-def: $vgpr5
                                        ; implicit-def: $vgpr7
                                        ; implicit-def: $vgpr8
	s_and_saveexec_b64 s[4:5], s[2:3]
	s_cbranch_execz .LBB0_11
; %bb.10:
	v_mad_u64_u32 v[4:5], s[2:3], s12, v0, 0
	v_add_u32_e32 v9, 0x90, v0
	v_mov_b32_e32 v8, s15
	v_mov_b32_e32 v1, v5
	v_mad_u64_u32 v[5:6], s[2:3], s13, v0, v[1:2]
	v_mad_u64_u32 v[6:7], s[2:3], s12, v9, 0
	v_add_co_u32_e64 v39, s[2:3], s14, v2
	v_mov_b32_e32 v1, v7
	v_addc_co_u32_e64 v40, s[2:3], v8, v3, s[2:3]
	v_mad_u64_u32 v[7:8], s[2:3], s13, v9, v[1:2]
	v_add_u32_e32 v10, 0x120, v0
	v_mad_u64_u32 v[8:9], s[2:3], s12, v10, 0
	v_lshlrev_b64 v[4:5], 2, v[4:5]
	v_add_u32_e32 v41, 0x6c0, v0
	v_add_co_u32_e64 v12, s[2:3], v39, v4
	v_mov_b32_e32 v1, v9
	v_addc_co_u32_e64 v13, s[2:3], v40, v5, s[2:3]
	v_lshlrev_b64 v[4:5], 2, v[6:7]
	v_mad_u64_u32 v[6:7], s[2:3], s13, v10, v[1:2]
	v_add_u32_e32 v7, 0x1b0, v0
	v_mad_u64_u32 v[10:11], s[2:3], s12, v7, 0
	v_add_co_u32_e64 v14, s[2:3], v39, v4
	v_mov_b32_e32 v9, v6
	v_mov_b32_e32 v1, v11
	v_addc_co_u32_e64 v15, s[2:3], v40, v5, s[2:3]
	v_lshlrev_b64 v[4:5], 2, v[8:9]
	v_mad_u64_u32 v[6:7], s[2:3], s13, v7, v[1:2]
	v_add_u32_e32 v9, 0x240, v0
	v_mad_u64_u32 v[7:8], s[2:3], s12, v9, 0
	v_add_co_u32_e64 v16, s[2:3], v39, v4
	v_mov_b32_e32 v1, v8
	v_addc_co_u32_e64 v17, s[2:3], v40, v5, s[2:3]
	v_mov_b32_e32 v11, v6
	v_mad_u64_u32 v[8:9], s[2:3], s13, v9, v[1:2]
	v_add_u32_e32 v6, 0x2d0, v0
	v_lshlrev_b64 v[4:5], 2, v[10:11]
	v_mad_u64_u32 v[9:10], s[2:3], s12, v6, 0
	v_add_co_u32_e64 v18, s[2:3], v39, v4
	v_mov_b32_e32 v1, v10
	v_addc_co_u32_e64 v19, s[2:3], v40, v5, s[2:3]
	v_lshlrev_b64 v[4:5], 2, v[7:8]
	v_mad_u64_u32 v[6:7], s[2:3], s13, v6, v[1:2]
	v_add_u32_e32 v11, 0x360, v0
	v_mad_u64_u32 v[7:8], s[2:3], s12, v11, 0
	v_add_co_u32_e64 v20, s[2:3], v39, v4
	v_mov_b32_e32 v10, v6
	v_mov_b32_e32 v1, v8
	v_addc_co_u32_e64 v21, s[2:3], v40, v5, s[2:3]
	v_lshlrev_b64 v[4:5], 2, v[9:10]
	v_mad_u64_u32 v[8:9], s[2:3], s13, v11, v[1:2]
	v_add_u32_e32 v6, 0x3f0, v0
	v_mad_u64_u32 v[9:10], s[2:3], s12, v6, 0
	v_add_co_u32_e64 v22, s[2:3], v39, v4
	v_mov_b32_e32 v1, v10
	v_addc_co_u32_e64 v23, s[2:3], v40, v5, s[2:3]
	v_lshlrev_b64 v[4:5], 2, v[7:8]
	v_mad_u64_u32 v[6:7], s[2:3], s13, v6, v[1:2]
	v_add_u32_e32 v11, 0x480, v0
	v_mad_u64_u32 v[7:8], s[2:3], s12, v11, 0
	v_add_co_u32_e64 v24, s[2:3], v39, v4
	v_mov_b32_e32 v10, v6
	v_mov_b32_e32 v1, v8
	v_addc_co_u32_e64 v25, s[2:3], v40, v5, s[2:3]
	v_lshlrev_b64 v[4:5], 2, v[9:10]
	v_mad_u64_u32 v[8:9], s[2:3], s13, v11, v[1:2]
	v_add_u32_e32 v6, 0x510, v0
	v_mad_u64_u32 v[9:10], s[2:3], s12, v6, 0
	v_add_co_u32_e64 v26, s[2:3], v39, v4
	v_mov_b32_e32 v1, v10
	v_addc_co_u32_e64 v27, s[2:3], v40, v5, s[2:3]
	v_lshlrev_b64 v[4:5], 2, v[7:8]
	v_mad_u64_u32 v[6:7], s[2:3], s13, v6, v[1:2]
	v_add_u32_e32 v11, 0x5a0, v0
	v_mad_u64_u32 v[7:8], s[2:3], s12, v11, 0
	v_add_co_u32_e64 v28, s[2:3], v39, v4
	v_mov_b32_e32 v10, v6
	v_addc_co_u32_e64 v29, s[2:3], v40, v5, s[2:3]
	v_lshlrev_b64 v[4:5], 2, v[9:10]
	v_mov_b32_e32 v1, v8
	v_mad_u64_u32 v[8:9], s[2:3], s13, v11, v[1:2]
	v_add_co_u32_e64 v30, s[2:3], v39, v4
	v_add_u32_e32 v6, 0x630, v0
	v_addc_co_u32_e64 v31, s[2:3], v40, v5, s[2:3]
	v_mad_u64_u32 v[32:33], s[2:3], s12, v6, 0
	v_lshlrev_b64 v[4:5], 2, v[7:8]
	v_add_co_u32_e64 v34, s[2:3], v39, v4
	v_mov_b32_e32 v1, v33
	v_addc_co_u32_e64 v35, s[2:3], v40, v5, s[2:3]
	v_mad_u64_u32 v[36:37], s[2:3], s13, v6, v[1:2]
	v_mad_u64_u32 v[37:38], s[2:3], s12, v41, 0
	global_load_dword v4, v[12:13], off
	global_load_dword v5, v[14:15], off
	;; [unrolled: 1-line block ×8, first 2 shown]
	v_mov_b32_e32 v33, v36
	v_mov_b32_e32 v1, v38
	v_mad_u64_u32 v[14:15], s[2:3], s13, v41, v[1:2]
	v_lshlrev_b64 v[12:13], 2, v[32:33]
	v_add_co_u32_e64 v15, s[2:3], v39, v12
	v_mov_b32_e32 v38, v14
	v_addc_co_u32_e64 v16, s[2:3], v40, v13, s[2:3]
	v_lshlrev_b64 v[12:13], 2, v[37:38]
	v_add_co_u32_e64 v19, s[2:3], v39, v12
	v_addc_co_u32_e64 v20, s[2:3], v40, v13, s[2:3]
	global_load_dword v12, v[28:29], off
	global_load_dword v13, v[30:31], off
	;; [unrolled: 1-line block ×5, first 2 shown]
	s_waitcnt vmcnt(12)
	v_lshrrev_b32_e32 v1, 16, v4
	s_waitcnt vmcnt(11)
	v_lshrrev_b32_e32 v14, 16, v5
	;; [unrolled: 2-line block ×13, first 2 shown]
.LBB0_11:
	s_or_b64 exec, exec, s[4:5]
	s_and_saveexec_b64 s[2:3], s[0:1]
	s_cbranch_execz .LBB0_13
; %bb.12:
	v_add_f16_e32 v23, v5, v25
	s_mov_b32 s4, 0x388b3b15
	s_mov_b32 s5, 0xba95b770
	;; [unrolled: 1-line block ×3, first 2 shown]
	v_sub_f16_e32 v27, v14, v31
	v_pk_mul_f16 v30, v23, s4 op_sel_hi:[0,1]
	v_add_f16_e32 v34, v6, v22
	s_mov_b32 s7, 0xbb7bba95
	v_pk_fma_f16 v32, v27, s5, v30 op_sel_hi:[0,1,1] neg_lo:[1,0,0] neg_hi:[1,0,0]
	v_sub_f16_e32 v36, v15, v29
	v_pk_mul_f16 v37, v34, s6 op_sel_hi:[0,1]
	s_mov_b32 s4, 0xbbc42fb7
	v_add_f16_e32 v35, v7, v18
	v_pk_add_f16 v32, v4, v32 op_sel_hi:[0,1]
	v_pk_fma_f16 v33, v36, s7, v37 op_sel_hi:[0,1,1] neg_lo:[1,0,0] neg_hi:[1,0,0]
	s_mov_b32 s6, 0xb3a8bbf1
	v_sub_f16_e32 v38, v16, v28
	v_pk_mul_f16 v39, v35, s4 op_sel_hi:[0,1]
	s_mov_b32 s4, 0xb9fdb5ac
	v_add_f16_e32 v40, v8, v13
	v_pk_add_f16 v32, v33, v32
	v_pk_fma_f16 v33, v38, s6, v39 op_sel_hi:[0,1,1] neg_lo:[1,0,0] neg_hi:[1,0,0]
	s_mov_b32 s10, 0x394ebb7b
	v_sub_f16_e32 v41, v17, v26
	v_pk_mul_f16 v42, v40, s4 op_sel_hi:[0,1]
	s_mov_b32 s4, 0x2fb7b9fd
	v_add_f16_e32 v43, v9, v12
	v_pk_add_f16 v32, v33, v32
	v_pk_fma_f16 v33, v41, s10, v42 op_sel_hi:[0,1,1] neg_lo:[1,0,0] neg_hi:[1,0,0]
	s_mov_b32 s11, 0x3bf1b94e
	v_sub_f16_e32 v44, v19, v24
	v_pk_mul_f16 v45, v43, s4 op_sel_hi:[0,1]
	s_mov_b32 s4, 0xb5ac2fb7
	v_pk_add_f16 v32, v33, v32
	v_pk_fma_f16 v33, v44, s11, v45 op_sel_hi:[0,1,1] neg_lo:[1,0,0] neg_hi:[1,0,0]
	s_mov_b32 s16, 0xbb7bbbf1
	s_mov_b32 s17, 0xb9fdbbc4
	v_pk_mul_f16 v46, v23, s4 op_sel_hi:[0,1]
	v_pk_add_f16 v32, v33, v32
	s_mov_b32 s18, 0x394eb3a8
	v_pk_fma_f16 v33, v27, s16, v46 op_sel_hi:[0,1,1] neg_lo:[1,0,0] neg_hi:[1,0,0]
	v_pk_mul_f16 v47, v34, s17 op_sel_hi:[0,1]
	v_pk_add_f16 v33, v4, v33 op_sel_hi:[0,1]
	v_pk_fma_f16 v48, v36, s18, v47 op_sel_hi:[0,1,1] neg_lo:[1,0,0] neg_hi:[1,0,0]
	s_mov_b32 s4, 0x3b15b5ac
	v_pk_add_f16 v33, v48, v33
	s_mov_b32 s17, 0x37703b7b
	v_pk_mul_f16 v48, v35, s4 op_sel_hi:[0,1]
	v_pk_fma_f16 v49, v38, s17, v48 op_sel_hi:[0,1,1] neg_lo:[1,0,0] neg_hi:[1,0,0]
	s_mov_b32 s4, 0x2fb73b15
	v_pk_add_f16 v33, v49, v33
	s_mov_b32 s19, 0xbbf13770
	v_pk_mul_f16 v49, v40, s4 op_sel_hi:[0,1]
	;; [unrolled: 5-line block ×3, first 2 shown]
	v_pk_fma_f16 v51, v44, s20, v50 op_sel_hi:[0,1,1] neg_lo:[1,0,0] neg_hi:[1,0,0]
	v_pk_add_f16 v33, v51, v33
	s_mov_b32 s4, 0x3b15bbc4
	v_add_f16_e32 v51, v10, v11
	s_mov_b32 s21, 0x3770b3a8
	s_mov_b32 s22, 0x388bb9fd
	v_sub_f16_e32 v52, v20, v21
	v_pk_mul_f16 v53, v51, s4 op_sel_hi:[0,1]
	s_mov_b32 s4, 0xbbc4b9fd
	s_mov_b32 s23, 0x3a95b94e
	v_pk_fma_f16 v54, v52, s21, v53 op_sel_hi:[0,1,1] neg_lo:[1,0,0] neg_hi:[1,0,0]
	v_pk_mul_f16 v55, v51, s22 op_sel_hi:[0,1]
	v_pk_mul_f16 v23, v23, s4 op_sel_hi:[0,1]
	s_mov_b32 s4, 0xb3a8b94e
	s_mov_b32 s22, 0x3b152fb7
	v_pk_fma_f16 v56, v52, s23, v55 op_sel_hi:[0,1,1] neg_lo:[1,0,0] neg_hi:[1,0,0]
	v_pk_add_f16 v32, v54, v32
	v_pk_mul_f16 v54, v34, s22 op_sel_hi:[0,1]
	s_mov_b32 s22, 0x37703bf1
	v_pk_fma_f16 v34, v27, s4, v23 op_sel_hi:[0,1,1] neg_lo:[1,0,0] neg_hi:[1,0,0]
	s_mov_b32 s24, 0xb9fd388b
	v_pk_fma_f16 v23, v27, s4, v23 op_sel_hi:[0,1,1]
	v_pk_add_f16 v33, v56, v33
	v_pk_add_f16 v34, v4, v34 op_sel_hi:[0,1]
	v_pk_fma_f16 v56, v36, s22, v54 op_sel_hi:[0,1,1] neg_lo:[1,0,0] neg_hi:[1,0,0]
	v_pk_mul_f16 v35, v35, s24 op_sel_hi:[0,1]
	s_mov_b32 s24, 0xb94eba95
	s_mov_b32 s25, 0x388bbbc4
	v_pk_add_f16 v23, v4, v23 op_sel_hi:[0,1]
	v_pk_fma_f16 v54, v36, s22, v54 op_sel_hi:[0,1,1]
	v_pk_add_f16 v34, v56, v34
	v_pk_fma_f16 v56, v38, s24, v35 op_sel_hi:[0,1,1] neg_lo:[1,0,0] neg_hi:[1,0,0]
	v_pk_mul_f16 v40, v40, s25 op_sel_hi:[0,1]
	s_mov_b32 s25, 0x3a9533a8
	s_mov_b32 s26, 0xb5ac3b15
	v_pk_add_f16 v23, v54, v23
	v_pk_fma_f16 v35, v38, s24, v35 op_sel_hi:[0,1,1]
	v_pk_mul_f16 v43, v43, s26 op_sel_hi:[0,1]
	s_mov_b32 s26, 0xbb7b3770
	s_mov_b32 s27, 0x2fb7b5ac
	v_pk_add_f16 v23, v35, v23
	v_pk_fma_f16 v35, v41, s25, v40 op_sel_hi:[0,1,1]
	v_pk_add_f16 v34, v56, v34
	v_pk_fma_f16 v56, v41, s25, v40 op_sel_hi:[0,1,1] neg_lo:[1,0,0] neg_hi:[1,0,0]
	v_pk_mul_f16 v51, v51, s27 op_sel_hi:[0,1]
	s_mov_b32 s27, 0x3bf1bb7b
	v_pk_add_f16 v23, v35, v23
	v_pk_fma_f16 v35, v44, s26, v43 op_sel_hi:[0,1,1]
	v_pk_add_f16 v34, v56, v34
	v_pk_fma_f16 v56, v44, s26, v43 op_sel_hi:[0,1,1] neg_lo:[1,0,0] neg_hi:[1,0,0]
	v_pk_add_f16 v23, v35, v23
	v_pk_fma_f16 v35, v52, s27, v51 op_sel_hi:[0,1,1]
	v_pk_add_f16 v34, v56, v34
	v_pk_fma_f16 v56, v52, s27, v51 op_sel_hi:[0,1,1] neg_lo:[1,0,0] neg_hi:[1,0,0]
	v_pk_add_f16 v23, v35, v23
	v_pk_add_f16 v34, v56, v34
	v_alignbit_b32 v35, v23, v23, 16
	v_mad_u32_u24 v23, v0, 26, 0
	ds_write_b128 v23, v[32:35] offset:2
	v_pk_fma_f16 v32, v27, s16, v46 op_sel_hi:[0,1,1]
	v_pk_fma_f16 v27, v27, s5, v30 op_sel_hi:[0,1,1]
	v_pk_add_f16 v32, v4, v32 op_sel_hi:[0,1]
	v_pk_add_f16 v27, v4, v27 op_sel_hi:[0,1]
	v_add_f16_e32 v4, v4, v5
	v_add_f16_e32 v4, v4, v6
	;; [unrolled: 1-line block ×5, first 2 shown]
	v_pk_fma_f16 v33, v36, s18, v47 op_sel_hi:[0,1,1]
	v_pk_fma_f16 v30, v36, s7, v37 op_sel_hi:[0,1,1]
	v_add_f16_e32 v4, v4, v10
	v_pk_add_f16 v32, v33, v32
	v_pk_fma_f16 v33, v38, s17, v48 op_sel_hi:[0,1,1]
	v_pk_add_f16 v27, v30, v27
	v_pk_fma_f16 v30, v38, s6, v39 op_sel_hi:[0,1,1]
	v_add_f16_e32 v4, v4, v11
	v_pk_add_f16 v32, v33, v32
	v_pk_fma_f16 v33, v41, s19, v49 op_sel_hi:[0,1,1]
	v_pk_add_f16 v27, v30, v27
	;; [unrolled: 5-line block ×4, first 2 shown]
	v_pk_fma_f16 v30, v52, s21, v53 op_sel_hi:[0,1,1]
	v_add_f16_e32 v4, v4, v18
	v_pk_add_f16 v32, v33, v32
	v_pk_add_f16 v27, v30, v27
	v_add_f16_e32 v4, v4, v22
	v_alignbit_b32 v32, v32, v32, 16
	v_alignbit_b32 v33, v27, v27, 16
	v_add_f16_e32 v4, v4, v25
	ds_write_b64 v23, v[32:33] offset:18
	ds_write_b16 v23, v4
.LBB0_13:
	s_or_b64 exec, exec, s[2:3]
	v_lshl_add_u32 v4, v0, 1, 0
	s_waitcnt lgkmcnt(0)
	s_barrier
	ds_read_u16 v32, v4
	ds_read_u16 v30, v4 offset:312
	ds_read_u16 v27, v4 offset:624
	;; [unrolled: 1-line block ×11, first 2 shown]
	s_waitcnt lgkmcnt(0)
	s_barrier
	s_and_saveexec_b64 s[2:3], s[0:1]
	s_cbranch_execz .LBB0_15
; %bb.14:
	v_sub_f16_e32 v25, v5, v25
	s_mov_b32 s1, 0xba95b770
	v_add_f16_e32 v41, v1, v14
	v_add_f16_e32 v14, v14, v31
	v_sub_f16_e32 v22, v6, v22
	s_mov_b32 s0, 0x388b3b15
	v_pk_mul_f16 v6, v25, s1 op_sel_hi:[0,1]
	s_mov_b32 s4, 0xbb7bba95
	v_add_f16_e32 v41, v41, v15
	v_add_f16_e32 v15, v15, v29
	v_sub_f16_e32 v10, v10, v11
	v_pk_fma_f16 v5, v14, s0, v6 op_sel_hi:[0,1,1]
	s_mov_b32 s1, 0xb5ac388b
	v_pk_mul_f16 v11, v22, s4 op_sel_hi:[0,1]
	v_add_f16_e32 v41, v41, v16
	v_sub_f16_e32 v7, v7, v18
	v_pk_add_f16 v5, v1, v5 op_sel_hi:[0,1]
	v_pk_fma_f16 v18, v15, s1, v11 op_sel_hi:[0,1,1]
	s_mov_b32 s5, 0xb3a8bbf1
	v_add_f16_e32 v41, v41, v17
	v_add_f16_e32 v16, v16, v28
	v_pk_add_f16 v5, v18, v5
	s_mov_b32 s4, 0xbbc42fb7
	v_pk_mul_f16 v18, v7, s5 op_sel_hi:[0,1]
	v_add_f16_e32 v41, v41, v19
	v_sub_f16_e32 v8, v8, v13
	v_add_f16_e32 v13, v19, v24
	v_pk_fma_f16 v19, v16, s4, v18 op_sel_hi:[0,1,1]
	s_mov_b32 s6, 0x394ebb7b
	v_add_f16_e32 v17, v17, v26
	v_pk_add_f16 v5, v19, v5
	s_mov_b32 s5, 0xb9fdb5ac
	v_pk_mul_f16 v19, v8, s6 op_sel_hi:[0,1]
	v_pk_fma_f16 v6, v14, s0, v6 op_sel_hi:[0,1,1] neg_lo:[0,0,1] neg_hi:[0,0,1]
	v_add_f16_e32 v41, v41, v20
	v_sub_f16_e32 v9, v9, v12
	v_add_f16_e32 v12, v20, v21
	v_pk_fma_f16 v20, v17, s5, v19 op_sel_hi:[0,1,1]
	s_mov_b32 s7, 0x3bf1b94e
	v_pk_add_f16 v6, v1, v6 op_sel_hi:[0,1]
	v_pk_fma_f16 v11, v15, s1, v11 op_sel_hi:[0,1,1] neg_lo:[0,0,1] neg_hi:[0,0,1]
	v_pk_add_f16 v5, v20, v5
	s_mov_b32 s6, 0x2fb7b9fd
	v_pk_mul_f16 v20, v9, s7 op_sel_hi:[0,1]
	v_pk_add_f16 v6, v11, v6
	v_pk_fma_f16 v11, v16, s4, v18 op_sel_hi:[0,1,1] neg_lo:[0,0,1] neg_hi:[0,0,1]
	v_add_f16_e32 v41, v41, v21
	v_pk_fma_f16 v21, v13, s6, v20 op_sel_hi:[0,1,1]
	s_mov_b32 s10, 0x3770b3a8
	v_pk_add_f16 v6, v11, v6
	v_pk_fma_f16 v11, v17, s5, v19 op_sel_hi:[0,1,1] neg_lo:[0,0,1] neg_hi:[0,0,1]
	v_pk_add_f16 v5, v21, v5
	s_mov_b32 s7, 0x3b15bbc4
	v_pk_mul_f16 v21, v10, s10 op_sel_hi:[0,1]
	v_pk_add_f16 v6, v11, v6
	v_pk_fma_f16 v11, v13, s6, v20 op_sel_hi:[0,1,1] neg_lo:[0,0,1] neg_hi:[0,0,1]
	s_mov_b32 s1, 0xbb7bbbf1
	v_pk_add_f16 v6, v11, v6
	v_pk_fma_f16 v11, v12, s7, v21 op_sel_hi:[0,1,1] neg_lo:[0,0,1] neg_hi:[0,0,1]
	s_mov_b32 s0, 0xb5ac2fb7
	v_pk_mul_f16 v18, v25, s1 op_sel_hi:[0,1]
	s_mov_b32 s4, 0x394eb3a8
	v_pk_add_f16 v11, v11, v6
	v_pk_fma_f16 v6, v14, s0, v18 op_sel_hi:[0,1,1]
	s_mov_b32 s1, 0xb9fdbbc4
	v_pk_mul_f16 v19, v22, s4 op_sel_hi:[0,1]
	v_pk_add_f16 v6, v1, v6 op_sel_hi:[0,1]
	v_pk_fma_f16 v20, v15, s1, v19 op_sel_hi:[0,1,1]
	s_mov_b32 s5, 0x37703b7b
	v_pk_add_f16 v6, v20, v6
	s_mov_b32 s4, 0x3b15b5ac
	v_pk_mul_f16 v20, v7, s5 op_sel_hi:[0,1]
	v_add_f16_e32 v41, v41, v24
	v_pk_fma_f16 v24, v12, s7, v21 op_sel_hi:[0,1,1]
	v_pk_fma_f16 v21, v16, s4, v20 op_sel_hi:[0,1,1]
	s_mov_b32 s6, 0xbbf13770
	v_pk_add_f16 v6, v21, v6
	s_mov_b32 s5, 0x2fb73b15
	v_pk_mul_f16 v21, v8, s6 op_sel_hi:[0,1]
	v_pk_fma_f16 v18, v14, s0, v18 op_sel_hi:[0,1,1] neg_lo:[0,0,1] neg_hi:[0,0,1]
	v_pk_add_f16 v5, v24, v5
	v_pk_fma_f16 v24, v17, s5, v21 op_sel_hi:[0,1,1]
	s_mov_b32 s7, 0x33a8ba95
	v_pk_add_f16 v18, v1, v18 op_sel_hi:[0,1]
	v_pk_fma_f16 v19, v15, s1, v19 op_sel_hi:[0,1,1] neg_lo:[0,0,1] neg_hi:[0,0,1]
	v_pk_add_f16 v6, v24, v6
	s_mov_b32 s6, 0xbbc4388b
	v_pk_mul_f16 v24, v9, s7 op_sel_hi:[0,1]
	v_pk_add_f16 v18, v19, v18
	v_pk_fma_f16 v19, v16, s4, v20 op_sel_hi:[0,1,1] neg_lo:[0,0,1] neg_hi:[0,0,1]
	v_add_f16_e32 v41, v41, v26
	v_pk_fma_f16 v26, v13, s6, v24 op_sel_hi:[0,1,1]
	s_mov_b32 s10, 0x3a95b94e
	v_pk_add_f16 v18, v19, v18
	v_pk_fma_f16 v19, v17, s5, v21 op_sel_hi:[0,1,1] neg_lo:[0,0,1] neg_hi:[0,0,1]
	v_pk_add_f16 v6, v26, v6
	s_mov_b32 s7, 0x388bb9fd
	v_pk_mul_f16 v26, v10, s10 op_sel_hi:[0,1]
	v_pk_add_f16 v18, v19, v18
	v_pk_fma_f16 v19, v13, s6, v24 op_sel_hi:[0,1,1] neg_lo:[0,0,1] neg_hi:[0,0,1]
	v_pk_add_f16 v18, v19, v18
	v_pk_fma_f16 v19, v12, s7, v26 op_sel_hi:[0,1,1] neg_lo:[0,0,1] neg_hi:[0,0,1]
	s_mov_b32 s1, 0xb3a8b94e
	v_pk_add_f16 v18, v19, v18
	s_mov_b32 s0, 0xbbc4b9fd
	v_pk_mul_f16 v19, v25, s1 op_sel_hi:[0,1]
	s_mov_b32 s4, 0x37703bf1
	v_pk_fma_f16 v20, v14, s0, v19 op_sel_hi:[0,1,1]
	s_mov_b32 s1, 0x3b152fb7
	v_pk_mul_f16 v21, v22, s4 op_sel_hi:[0,1]
	v_pk_add_f16 v20, v1, v20 op_sel_hi:[0,1]
	v_pk_fma_f16 v22, v15, s1, v21 op_sel_hi:[0,1,1]
	s_mov_b32 s5, 0xb94eba95
	v_pk_fma_f16 v14, v14, s0, v19 op_sel_hi:[0,1,1] neg_lo:[0,0,1] neg_hi:[0,0,1]
	v_pk_add_f16 v20, v22, v20
	s_mov_b32 s4, 0xb9fd388b
	v_pk_mul_f16 v22, v7, s5 op_sel_hi:[0,1]
	s_mov_b32 s6, 0x3a9533a8
	v_pk_add_f16 v1, v1, v14 op_sel_hi:[0,1]
	v_pk_fma_f16 v14, v15, s1, v21 op_sel_hi:[0,1,1] neg_lo:[0,0,1] neg_hi:[0,0,1]
	v_add_f16_e32 v41, v41, v28
	v_pk_fma_f16 v28, v12, s7, v26 op_sel_hi:[0,1,1]
	v_pk_fma_f16 v7, v16, s4, v22 op_sel_hi:[0,1,1]
	s_mov_b32 s5, 0x388bbbc4
	v_pk_mul_f16 v8, v8, s6 op_sel_hi:[0,1]
	s_mov_b32 s7, 0xbb7b3770
	v_pk_add_f16 v1, v14, v1
	v_pk_fma_f16 v14, v16, s4, v22 op_sel_hi:[0,1,1] neg_lo:[0,0,1] neg_hi:[0,0,1]
	v_pk_add_f16 v7, v7, v20
	v_pk_fma_f16 v20, v17, s5, v8 op_sel_hi:[0,1,1]
	s_mov_b32 s6, 0xb5ac3b15
	v_pk_mul_f16 v9, v9, s7 op_sel_hi:[0,1]
	s_mov_b32 s10, 0x3bf1bb7b
	v_pk_add_f16 v1, v14, v1
	v_pk_fma_f16 v8, v17, s5, v8 op_sel_hi:[0,1,1] neg_lo:[0,0,1] neg_hi:[0,0,1]
	s_mov_b32 s7, 0x2fb7b5ac
	v_pk_mul_f16 v10, v10, s10 op_sel_hi:[0,1]
	v_pk_add_f16 v1, v8, v1
	v_pk_fma_f16 v8, v13, s6, v9 op_sel_hi:[0,1,1] neg_lo:[0,0,1] neg_hi:[0,0,1]
	v_pk_add_f16 v7, v20, v7
	v_pk_fma_f16 v20, v13, s6, v9 op_sel_hi:[0,1,1]
	v_pk_add_f16 v1, v8, v1
	v_pk_fma_f16 v8, v12, s7, v10 op_sel_hi:[0,1,1] neg_lo:[0,0,1] neg_hi:[0,0,1]
	v_pk_add_f16 v7, v20, v7
	v_pk_fma_f16 v20, v12, s7, v10 op_sel_hi:[0,1,1]
	v_pk_add_f16 v1, v8, v1
	v_add_f16_e32 v41, v41, v29
	v_pk_add_f16 v6, v28, v6
	v_pk_add_f16 v7, v20, v7
	v_mad_u32_u24 v9, v0, 24, v4
	v_alignbit_b32 v8, v1, v1, 16
	v_add_f16_e32 v41, v41, v31
	ds_write_b128 v9, v[5:8] offset:2
	v_alignbit_b32 v5, v18, v18, 16
	v_alignbit_b32 v6, v11, v11, 16
	ds_write_b16 v9, v41
	ds_write_b64 v9, v[5:6] offset:18
.LBB0_15:
	s_or_b64 exec, exec, s[2:3]
	s_movk_i32 s0, 0x4f
	v_add_u32_e32 v7, 0x9c, v0
	v_add_u32_e32 v6, 0x138, v0
	v_mul_lo_u16_sdwa v1, v0, s0 dst_sel:DWORD dst_unused:UNUSED_PAD src0_sel:BYTE_0 src1_sel:DWORD
	s_movk_i32 s0, 0x4ec5
	v_add_u32_e32 v5, 0x1d4, v0
	v_lshrrev_b16_e32 v1, 10, v1
	v_mul_u32_u24_sdwa v9, v7, s0 dst_sel:DWORD dst_unused:UNUSED_PAD src0_sel:WORD_0 src1_sel:DWORD
	v_mul_u32_u24_sdwa v11, v6, s0 dst_sel:DWORD dst_unused:UNUSED_PAD src0_sel:WORD_0 src1_sel:DWORD
	v_mul_lo_u16_e32 v8, 13, v1
	v_lshrrev_b32_e32 v18, 18, v9
	v_lshrrev_b32_e32 v20, 18, v11
	v_mul_u32_u24_sdwa v14, v5, s0 dst_sel:DWORD dst_unused:UNUSED_PAD src0_sel:WORD_0 src1_sel:DWORD
	v_sub_u16_e32 v16, v0, v8
	v_mov_b32_e32 v17, 3
	v_mul_lo_u16_e32 v9, 13, v18
	v_mul_lo_u16_e32 v12, 13, v20
	v_lshrrev_b32_e32 v22, 18, v14
	v_lshlrev_b32_sdwa v8, v17, v16 dst_sel:DWORD dst_unused:UNUSED_PAD src0_sel:DWORD src1_sel:BYTE_0
	v_sub_u16_e32 v19, v7, v9
	v_sub_u16_e32 v21, v6, v12
	v_mul_lo_u16_e32 v14, 13, v22
	s_waitcnt lgkmcnt(0)
	s_barrier
	v_lshlrev_b32_e32 v10, 3, v19
	global_load_dwordx2 v[8:9], v8, s[8:9]
	v_lshlrev_b32_e32 v12, 3, v21
	global_load_dwordx2 v[10:11], v10, s[8:9]
	v_sub_u16_e32 v24, v5, v14
	global_load_dwordx2 v[12:13], v12, s[8:9]
	v_lshlrev_b32_e32 v14, 3, v24
	global_load_dwordx2 v[14:15], v14, s[8:9]
	ds_read_u16 v25, v4
	ds_read_u16 v26, v4 offset:312
	ds_read_u16 v28, v4 offset:624
	;; [unrolled: 1-line block ×11, first 2 shown]
	s_movk_i32 s1, 0x3aee
	s_mov_b32 s0, 0xbaee
	v_mov_b32_e32 v48, 1
	v_lshlrev_b32_sdwa v16, v48, v16 dst_sel:DWORD dst_unused:UNUSED_PAD src0_sel:DWORD src1_sel:BYTE_0
	v_lshlrev_b32_e32 v19, 1, v19
	v_mul_u32_u24_e32 v1, 0x4e, v1
	v_add3_u32 v1, 0, v1, v16
	v_lshlrev_b32_e32 v21, 1, v21
	s_waitcnt vmcnt(0) lgkmcnt(0)
	s_barrier
	v_lshlrev_b32_e32 v24, 1, v24
	s_movk_i32 s2, 0xa5
	v_mul_f16_sdwa v49, v42, v8 dst_sel:DWORD dst_unused:UNUSED_PAD src0_sel:DWORD src1_sel:WORD_1
	v_mul_f16_sdwa v51, v44, v9 dst_sel:DWORD dst_unused:UNUSED_PAD src0_sel:DWORD src1_sel:WORD_1
	;; [unrolled: 1-line block ×7, first 2 shown]
	v_fma_f16 v40, v40, v8, -v49
	v_fma_f16 v39, v39, v9, -v51
	v_mul_f16_sdwa v53, v41, v10 dst_sel:DWORD dst_unused:UNUSED_PAD src0_sel:DWORD src1_sel:WORD_1
	v_mul_f16_sdwa v54, v35, v10 dst_sel:DWORD dst_unused:UNUSED_PAD src0_sel:DWORD src1_sel:WORD_1
	;; [unrolled: 1-line block ×4, first 2 shown]
	v_fma_f16 v8, v42, v8, v50
	v_mul_f16_sdwa v42, v33, v14 dst_sel:DWORD dst_unused:UNUSED_PAD src0_sel:DWORD src1_sel:WORD_1
	v_mul_f16_sdwa v50, v47, v15 dst_sel:DWORD dst_unused:UNUSED_PAD src0_sel:DWORD src1_sel:WORD_1
	v_fma_f16 v9, v44, v9, v52
	v_fma_f16 v34, v34, v12, -v57
	v_fma_f16 v12, v29, v12, v58
	v_fma_f16 v29, v37, v13, -v59
	v_add_f16_e32 v37, v40, v39
	v_mul_f16_sdwa v55, v45, v11 dst_sel:DWORD dst_unused:UNUSED_PAD src0_sel:DWORD src1_sel:WORD_1
	v_mul_f16_sdwa v44, v36, v15 dst_sel:DWORD dst_unused:UNUSED_PAD src0_sel:DWORD src1_sel:WORD_1
	v_fma_f16 v35, v35, v10, -v53
	v_fma_f16 v10, v41, v10, v54
	v_fma_f16 v33, v33, v14, -v49
	v_fma_f16 v14, v31, v14, v42
	v_fma_f16 v31, v36, v15, -v50
	v_add_f16_e32 v36, v32, v40
	v_sub_f16_e32 v41, v8, v9
	v_fma_f16 v32, v37, -0.5, v32
	v_mul_f16_sdwa v56, v38, v11 dst_sel:DWORD dst_unused:UNUSED_PAD src0_sel:DWORD src1_sel:WORD_1
	v_fma_f16 v38, v38, v11, -v55
	v_fma_f16 v37, v41, s1, v32
	v_fma_f16 v32, v41, s0, v32
	v_add_f16_e32 v41, v25, v8
	v_add_f16_e32 v8, v8, v9
	v_fma_f16 v11, v45, v11, v56
	v_add_f16_e32 v36, v36, v39
	v_add_f16_e32 v41, v41, v9
	v_fma_f16 v8, v8, -0.5, v25
	v_sub_f16_e32 v9, v40, v39
	v_add_f16_e32 v39, v35, v38
	v_fma_f16 v25, v9, s0, v8
	v_fma_f16 v8, v9, s1, v8
	v_add_f16_e32 v9, v30, v35
	v_fma_f16 v30, v39, -0.5, v30
	v_sub_f16_e32 v39, v10, v11
	v_fma_f16 v40, v39, s1, v30
	v_fma_f16 v30, v39, s0, v30
	v_add_f16_e32 v39, v26, v10
	v_add_f16_e32 v10, v10, v11
	v_fma_f16 v13, v46, v13, v60
	v_add_f16_e32 v39, v39, v11
	v_fma_f16 v10, v10, -0.5, v26
	v_sub_f16_e32 v11, v35, v38
	v_add_f16_e32 v35, v34, v29
	v_fma_f16 v26, v11, s0, v10
	v_fma_f16 v10, v11, s1, v10
	v_add_f16_e32 v11, v27, v34
	v_fma_f16 v27, v35, -0.5, v27
	v_sub_f16_e32 v35, v12, v13
	v_add_f16_e32 v9, v9, v38
	v_fma_f16 v38, v35, s1, v27
	v_fma_f16 v27, v35, s0, v27
	v_add_f16_e32 v35, v28, v12
	v_add_f16_e32 v12, v12, v13
	v_fma_f16 v15, v47, v15, v44
	v_add_f16_e32 v11, v11, v29
	v_add_f16_e32 v35, v35, v13
	v_fma_f16 v12, v12, -0.5, v28
	v_sub_f16_e32 v13, v34, v29
	v_add_f16_e32 v29, v33, v31
	v_fma_f16 v28, v13, s0, v12
	v_fma_f16 v12, v13, s1, v12
	v_add_f16_e32 v13, v23, v33
	v_fma_f16 v23, v29, -0.5, v23
	v_sub_f16_e32 v29, v14, v15
	v_fma_f16 v34, v29, s1, v23
	v_fma_f16 v23, v29, s0, v23
	v_add_f16_e32 v29, v43, v14
	v_add_f16_e32 v14, v14, v15
	;; [unrolled: 1-line block ×3, first 2 shown]
	v_fma_f16 v14, v14, -0.5, v43
	v_sub_f16_e32 v15, v33, v31
	v_add_f16_e32 v13, v13, v31
	v_fma_f16 v31, v15, s0, v14
	v_fma_f16 v14, v15, s1, v14
	v_mul_u32_u24_e32 v15, 0x4e, v18
	v_add3_u32 v15, 0, v15, v19
	ds_write_b16 v1, v36
	ds_write_b16 v1, v37 offset:26
	ds_write_b16 v1, v32 offset:52
	ds_write_b16 v15, v9
	ds_write_b16 v15, v40 offset:26
	ds_write_b16 v15, v30 offset:52
	v_mul_u32_u24_e32 v9, 0x4e, v20
	v_add3_u32 v9, 0, v9, v21
	ds_write_b16 v9, v11
	ds_write_b16 v9, v38 offset:26
	ds_write_b16 v9, v27 offset:52
	v_mul_u32_u24_e32 v11, 0x4e, v22
	v_add3_u32 v11, 0, v11, v24
	ds_write_b16 v11, v13
	ds_write_b16 v11, v34 offset:26
	ds_write_b16 v11, v23 offset:52
	s_waitcnt lgkmcnt(0)
	s_barrier
	ds_read_u16 v18, v4
	ds_read_u16 v19, v4 offset:312
	ds_read_u16 v20, v4 offset:2184
	;; [unrolled: 1-line block ×11, first 2 shown]
	s_waitcnt lgkmcnt(0)
	s_barrier
	ds_write_b16 v1, v41
	ds_write_b16 v1, v25 offset:26
	ds_write_b16 v1, v8 offset:52
	ds_write_b16 v15, v39
	ds_write_b16 v15, v26 offset:26
	ds_write_b16 v15, v10 offset:52
	;; [unrolled: 3-line block ×4, first 2 shown]
	v_mul_lo_u16_sdwa v1, v0, s2 dst_sel:DWORD dst_unused:UNUSED_PAD src0_sel:BYTE_0 src1_sel:DWORD
	v_sub_u16_sdwa v8, v0, v1 dst_sel:DWORD dst_unused:UNUSED_PAD src0_sel:DWORD src1_sel:BYTE_1
	v_lshrrev_b16_e32 v8, 1, v8
	v_and_b32_e32 v8, 0x7f, v8
	v_add_u16_sdwa v1, v8, v1 dst_sel:DWORD dst_unused:UNUSED_PAD src0_sel:DWORD src1_sel:BYTE_1
	v_lshrrev_b16_e32 v1, 5, v1
	v_and_b32_e32 v1, 7, v1
	v_mul_lo_u16_e32 v8, 39, v1
	s_mov_b32 s2, 0xa41b
	v_sub_u16_e32 v25, v0, v8
	v_mul_u32_u24_sdwa v11, v7, s2 dst_sel:DWORD dst_unused:UNUSED_PAD src0_sel:WORD_0 src1_sel:DWORD
	v_mul_u32_u24_sdwa v8, v25, v17 dst_sel:DWORD dst_unused:UNUSED_PAD src0_sel:BYTE_0 src1_sel:DWORD
	v_sub_u16_sdwa v12, v7, v11 dst_sel:DWORD dst_unused:UNUSED_PAD src0_sel:DWORD src1_sel:WORD_1
	v_lshlrev_b32_e32 v8, 2, v8
	v_lshrrev_b16_e32 v12, 1, v12
	s_waitcnt lgkmcnt(0)
	s_barrier
	global_load_dwordx3 v[8:10], v8, s[8:9] offset:104
	v_add_u16_sdwa v11, v12, v11 dst_sel:DWORD dst_unused:UNUSED_PAD src0_sel:DWORD src1_sel:WORD_1
	v_lshrrev_b16_e32 v17, 5, v11
	v_mul_lo_u16_e32 v11, 39, v17
	v_sub_u16_e32 v26, v7, v11
	v_mul_u32_u24_sdwa v14, v6, s2 dst_sel:DWORD dst_unused:UNUSED_PAD src0_sel:WORD_0 src1_sel:DWORD
	v_mul_u32_u24_e32 v11, 3, v26
	v_sub_u16_sdwa v15, v6, v14 dst_sel:DWORD dst_unused:UNUSED_PAD src0_sel:DWORD src1_sel:WORD_1
	v_lshlrev_b32_e32 v11, 2, v11
	global_load_dwordx3 v[11:13], v11, s[8:9] offset:104
	v_lshrrev_b16_e32 v15, 1, v15
	v_add_u16_sdwa v14, v15, v14 dst_sel:DWORD dst_unused:UNUSED_PAD src0_sel:DWORD src1_sel:WORD_1
	v_lshrrev_b16_e32 v28, 5, v14
	v_mul_lo_u16_e32 v14, 39, v28
	v_sub_u16_e32 v29, v6, v14
	v_mul_u32_u24_e32 v14, 3, v29
	v_lshlrev_b32_e32 v14, 2, v14
	global_load_dwordx3 v[14:16], v14, s[8:9] offset:104
	ds_read_u16 v31, v4
	ds_read_u16 v35, v4 offset:312
	ds_read_u16 v36, v4 offset:2184
	;; [unrolled: 1-line block ×11, first 2 shown]
	s_movk_i32 s2, 0x138
	v_mul_u32_u24_sdwa v1, v1, s2 dst_sel:DWORD dst_unused:UNUSED_PAD src0_sel:WORD_0 src1_sel:DWORD
	v_lshlrev_b32_sdwa v25, v48, v25 dst_sel:DWORD dst_unused:UNUSED_PAD src0_sel:DWORD src1_sel:BYTE_0
	v_add3_u32 v1, 0, v1, v25
	s_waitcnt vmcnt(0) lgkmcnt(0)
	s_barrier
	v_mul_f16_sdwa v46, v40, v8 dst_sel:DWORD dst_unused:UNUSED_PAD src0_sel:DWORD src1_sel:WORD_1
	v_fma_f16 v46, v24, v8, -v46
	v_mul_f16_sdwa v24, v24, v8 dst_sel:DWORD dst_unused:UNUSED_PAD src0_sel:DWORD src1_sel:WORD_1
	v_fma_f16 v8, v40, v8, v24
	v_mul_f16_sdwa v24, v37, v9 dst_sel:DWORD dst_unused:UNUSED_PAD src0_sel:DWORD src1_sel:WORD_1
	v_fma_f16 v24, v21, v9, -v24
	v_mul_f16_sdwa v21, v21, v9 dst_sel:DWORD dst_unused:UNUSED_PAD src0_sel:DWORD src1_sel:WORD_1
	v_fma_f16 v9, v37, v9, v21
	;; [unrolled: 4-line block ×8, first 2 shown]
	v_mul_f16_sdwa v34, v42, v16 dst_sel:DWORD dst_unused:UNUSED_PAD src0_sel:DWORD src1_sel:WORD_1
	v_fma_f16 v34, v30, v16, -v34
	v_mul_f16_sdwa v30, v30, v16 dst_sel:DWORD dst_unused:UNUSED_PAD src0_sel:DWORD src1_sel:WORD_1
	v_sub_f16_e32 v24, v18, v24
	v_sub_f16_e32 v9, v31, v9
	;; [unrolled: 1-line block ×3, first 2 shown]
	v_fma_f16 v16, v42, v16, v30
	v_fma_f16 v18, v18, 2.0, -v24
	v_fma_f16 v30, v31, 2.0, -v9
	;; [unrolled: 1-line block ×3, first 2 shown]
	v_sub_f16_e32 v10, v8, v10
	v_sub_f16_e32 v31, v18, v31
	;; [unrolled: 1-line block ×4, first 2 shown]
	v_fma_f16 v8, v8, 2.0, -v10
	v_fma_f16 v18, v18, 2.0, -v31
	v_sub_f16_e32 v10, v24, v10
	v_fma_f16 v19, v19, 2.0, -v23
	v_fma_f16 v33, v33, 2.0, -v20
	v_fma_f16 v24, v24, 2.0, -v10
	v_sub_f16_e32 v13, v11, v13
	v_sub_f16_e32 v33, v19, v33
	;; [unrolled: 1-line block ×4, first 2 shown]
	ds_write_b16 v1, v18
	ds_write_b16 v1, v24 offset:78
	ds_write_b16 v1, v31 offset:156
	;; [unrolled: 1-line block ×3, first 2 shown]
	v_mul_u32_u24_e32 v10, 0x138, v17
	v_lshlrev_b32_e32 v17, 1, v26
	v_sub_f16_e32 v12, v35, v12
	v_fma_f16 v11, v11, 2.0, -v13
	v_fma_f16 v19, v19, 2.0, -v33
	v_sub_f16_e32 v13, v23, v13
	v_sub_f16_e32 v15, v41, v15
	v_fma_f16 v27, v27, 2.0, -v22
	v_sub_f16_e32 v16, v14, v16
	v_fma_f16 v32, v32, 2.0, -v34
	v_add3_u32 v10, 0, v10, v17
	v_sub_f16_e32 v8, v30, v8
	v_fma_f16 v35, v35, 2.0, -v12
	v_fma_f16 v23, v23, 2.0, -v13
	;; [unrolled: 1-line block ×4, first 2 shown]
	v_sub_f16_e32 v32, v27, v32
	v_sub_f16_e32 v16, v22, v16
	ds_write_b16 v10, v19
	ds_write_b16 v10, v23 offset:78
	ds_write_b16 v10, v33 offset:156
	ds_write_b16 v10, v13 offset:234
	v_mul_u32_u24_e32 v13, 0x138, v28
	v_lshlrev_b32_e32 v17, 1, v29
	v_fma_f16 v30, v30, 2.0, -v8
	v_add_f16_e32 v21, v9, v21
	v_sub_f16_e32 v11, v35, v11
	v_add_f16_e32 v20, v12, v20
	v_sub_f16_e32 v14, v36, v14
	v_fma_f16 v27, v27, 2.0, -v32
	v_add_f16_e32 v34, v15, v34
	v_fma_f16 v22, v22, 2.0, -v16
	v_add3_u32 v13, 0, v13, v17
	v_fma_f16 v9, v9, 2.0, -v21
	v_fma_f16 v35, v35, 2.0, -v11
	;; [unrolled: 1-line block ×5, first 2 shown]
	ds_write_b16 v13, v27
	ds_write_b16 v13, v22 offset:78
	ds_write_b16 v13, v32 offset:156
	;; [unrolled: 1-line block ×3, first 2 shown]
	s_waitcnt lgkmcnt(0)
	s_barrier
	ds_read_u16 v16, v4
	ds_read_u16 v17, v4 offset:2496
	ds_read_u16 v18, v4 offset:2184
	;; [unrolled: 1-line block ×11, first 2 shown]
	s_waitcnt lgkmcnt(0)
	s_barrier
	ds_write_b16 v1, v30
	ds_write_b16 v1, v9 offset:78
	ds_write_b16 v1, v8 offset:156
	ds_write_b16 v1, v21 offset:234
	ds_write_b16 v10, v35
	ds_write_b16 v10, v12 offset:78
	ds_write_b16 v10, v11 offset:156
	ds_write_b16 v10, v20 offset:234
	;; [unrolled: 4-line block ×3, first 2 shown]
	v_mul_u32_u24_e32 v1, 5, v0
	v_lshlrev_b32_e32 v1, 2, v1
	s_waitcnt lgkmcnt(0)
	s_barrier
	global_load_dwordx4 v[8:11], v1, s[8:9] offset:572
	global_load_dword v12, v1, s[8:9] offset:588
	ds_read_u16 v1, v4
	ds_read_u16 v13, v4 offset:2496
	ds_read_u16 v14, v4 offset:2184
	;; [unrolled: 1-line block ×11, first 2 shown]
	s_waitcnt vmcnt(0) lgkmcnt(0)
	s_barrier
	v_mul_f16_sdwa v36, v31, v8 dst_sel:DWORD dst_unused:UNUSED_PAD src0_sel:DWORD src1_sel:WORD_1
	v_fma_f16 v36, v25, v8, -v36
	v_mul_f16_sdwa v25, v25, v8 dst_sel:DWORD dst_unused:UNUSED_PAD src0_sel:DWORD src1_sel:WORD_1
	v_fma_f16 v25, v31, v8, v25
	v_mul_f16_sdwa v31, v21, v9 dst_sel:DWORD dst_unused:UNUSED_PAD src0_sel:DWORD src1_sel:WORD_1
	v_fma_f16 v31, v23, v9, -v31
	v_mul_f16_sdwa v23, v23, v9 dst_sel:DWORD dst_unused:UNUSED_PAD src0_sel:DWORD src1_sel:WORD_1
	v_fma_f16 v21, v21, v9, v23
	;; [unrolled: 4-line block ×8, first 2 shown]
	v_mul_f16_sdwa v14, v35, v11 dst_sel:DWORD dst_unused:UNUSED_PAD src0_sel:DWORD src1_sel:WORD_1
	v_mul_f16_sdwa v18, v29, v11 dst_sel:DWORD dst_unused:UNUSED_PAD src0_sel:DWORD src1_sel:WORD_1
	v_fma_f16 v14, v29, v11, -v14
	v_fma_f16 v11, v35, v11, v18
	v_mul_f16_sdwa v18, v33, v12 dst_sel:DWORD dst_unused:UNUSED_PAD src0_sel:DWORD src1_sel:WORD_1
	v_fma_f16 v18, v27, v12, -v18
	v_mul_f16_sdwa v22, v27, v12 dst_sel:DWORD dst_unused:UNUSED_PAD src0_sel:DWORD src1_sel:WORD_1
	v_add_f16_e32 v27, v31, v19
	v_fma_f16 v12, v33, v12, v22
	v_add_f16_e32 v22, v16, v31
	v_fma_f16 v16, v27, -0.5, v16
	v_sub_f16_e32 v27, v21, v13
	v_fma_f16 v29, v27, s1, v16
	v_fma_f16 v16, v27, s0, v16
	v_add_f16_e32 v27, v1, v21
	v_add_f16_e32 v27, v27, v13
	;; [unrolled: 1-line block ×4, first 2 shown]
	v_fma_f16 v1, v13, -0.5, v1
	v_sub_f16_e32 v13, v31, v19
	v_fma_f16 v21, v21, -0.5, v36
	v_sub_f16_e32 v30, v15, v28
	v_add_f16_e32 v22, v22, v19
	v_fma_f16 v19, v13, s0, v1
	v_fma_f16 v1, v13, s1, v1
	v_add_f16_e32 v13, v36, v23
	v_fma_f16 v31, v30, s1, v21
	v_fma_f16 v21, v30, s0, v21
	v_add_f16_e32 v30, v25, v15
	v_add_f16_e32 v15, v15, v28
	v_add_f16_e32 v13, v13, v17
	v_fma_f16 v15, v15, -0.5, v25
	v_sub_f16_e32 v17, v23, v17
	v_fma_f16 v23, v17, s0, v15
	v_mul_f16_e32 v25, 0x3aee, v23
	v_fma_f16 v15, v17, s1, v15
	v_fma_f16 v25, v31, 0.5, v25
	v_mul_f16_e32 v33, -0.5, v21
	v_mul_f16_e32 v31, 0xbaee, v31
	v_fma_f16 v33, v15, s1, v33
	v_fma_f16 v23, v23, 0.5, v31
	v_mul_f16_e32 v15, -0.5, v15
	v_add_f16_e32 v31, v19, v23
	v_fma_f16 v15, v21, s0, v15
	v_sub_f16_e32 v23, v19, v23
	v_add_f16_e32 v19, v24, v14
	v_add_f16_e32 v30, v30, v28
	;; [unrolled: 1-line block ×3, first 2 shown]
	v_sub_f16_e32 v1, v1, v15
	v_add_f16_e32 v15, v26, v24
	v_fma_f16 v19, v19, -0.5, v26
	v_sub_f16_e32 v26, v9, v11
	v_add_f16_e32 v17, v22, v13
	v_add_f16_e32 v28, v29, v25
	;; [unrolled: 1-line block ×3, first 2 shown]
	v_sub_f16_e32 v13, v22, v13
	v_sub_f16_e32 v22, v29, v25
	;; [unrolled: 1-line block ×3, first 2 shown]
	v_fma_f16 v27, v26, s1, v19
	v_fma_f16 v19, v26, s0, v19
	v_add_f16_e32 v26, v32, v9
	v_add_f16_e32 v26, v26, v11
	;; [unrolled: 1-line block ×3, first 2 shown]
	v_sub_f16_e32 v11, v24, v14
	v_add_f16_e32 v24, v20, v18
	v_fma_f16 v24, v24, -0.5, v34
	v_sub_f16_e32 v29, v10, v12
	v_fma_f16 v30, v29, s1, v24
	v_fma_f16 v24, v29, s0, v24
	v_add_f16_e32 v29, v8, v10
	v_add_f16_e32 v10, v10, v12
	v_fma_f16 v9, v9, -0.5, v32
	v_fma_f16 v8, v10, -0.5, v8
	v_sub_f16_e32 v10, v20, v18
	v_add_f16_e32 v15, v15, v14
	v_fma_f16 v14, v11, s0, v9
	v_fma_f16 v9, v11, s1, v9
	v_add_f16_e32 v11, v34, v20
	v_add_f16_e32 v29, v29, v12
	v_fma_f16 v12, v10, s0, v8
	v_add_f16_e32 v11, v11, v18
	v_fma_f16 v8, v10, s1, v8
	v_mul_f16_e32 v18, 0x3aee, v12
	v_mul_f16_e32 v32, -0.5, v24
	v_fma_f16 v18, v30, 0.5, v18
	v_fma_f16 v32, v8, s1, v32
	v_mul_f16_e32 v30, 0xbaee, v30
	v_mul_f16_e32 v8, -0.5, v8
	v_add_f16_e32 v35, v16, v33
	v_sub_f16_e32 v16, v16, v33
	v_add_f16_e32 v10, v15, v11
	v_add_f16_e32 v20, v27, v18
	v_fma_f16 v12, v12, 0.5, v30
	v_fma_f16 v8, v24, s0, v8
	v_sub_f16_e32 v11, v15, v11
	v_sub_f16_e32 v15, v27, v18
	;; [unrolled: 1-line block ×3, first 2 shown]
	v_add_f16_e32 v33, v19, v32
	v_add_f16_e32 v34, v26, v29
	;; [unrolled: 1-line block ×4, first 2 shown]
	v_sub_f16_e32 v26, v26, v29
	v_sub_f16_e32 v27, v14, v12
	;; [unrolled: 1-line block ×3, first 2 shown]
	ds_write_b16 v4, v17
	ds_write_b16 v4, v28 offset:312
	ds_write_b16 v4, v35 offset:624
	;; [unrolled: 1-line block ×11, first 2 shown]
	s_waitcnt lgkmcnt(0)
	s_barrier
	ds_read_u16 v8, v4
	ds_read_u16 v9, v4 offset:312
	ds_read_u16 v10, v4 offset:624
	;; [unrolled: 1-line block ×11, first 2 shown]
	s_waitcnt lgkmcnt(0)
	s_barrier
	ds_write_b16 v4, v36
	ds_write_b16 v4, v31 offset:312
	ds_write_b16 v4, v21 offset:624
	ds_write_b16 v4, v25 offset:936
	ds_write_b16 v4, v23 offset:1248
	ds_write_b16 v4, v1 offset:1560
	ds_write_b16 v4, v34 offset:1872
	ds_write_b16 v4, v30 offset:2184
	ds_write_b16 v4, v24 offset:2496
	ds_write_b16 v4, v26 offset:2808
	ds_write_b16 v4, v27 offset:3120
	ds_write_b16 v4, v29 offset:3432
	s_waitcnt lgkmcnt(0)
	s_barrier
	s_and_saveexec_b64 s[0:1], vcc
	s_cbranch_execz .LBB0_17
; %bb.16:
	v_mov_b32_e32 v1, 0
	v_lshlrev_b64 v[20:21], 2, v[0:1]
	v_mov_b32_e32 v1, s9
	v_add_co_u32_e32 v20, vcc, s8, v20
	v_addc_co_u32_e32 v21, vcc, v1, v21, vcc
	v_add_co_u32_e32 v22, vcc, 0x1000, v20
	v_addc_co_u32_e32 v23, vcc, 0, v21, vcc
	global_load_dword v24, v[22:23], off offset:2716
	global_load_dword v25, v[22:23], off offset:2092
	;; [unrolled: 1-line block ×6, first 2 shown]
	v_mad_u64_u32 v[20:21], s[0:1], s12, v0, 0
	ds_read_u16 v23, v4 offset:3432
	ds_read_u16 v30, v4 offset:3120
	;; [unrolled: 1-line block ×11, first 2 shown]
	ds_read_u16 v4, v4
	v_mov_b32_e32 v1, v21
	v_mad_u64_u32 v[21:22], s[0:1], s13, v0, v[1:2]
	v_mov_b32_e32 v40, s15
	v_add_co_u32_e32 v22, vcc, s14, v2
	v_addc_co_u32_e32 v40, vcc, v40, v3, vcc
	v_lshlrev_b64 v[1:2], 2, v[20:21]
	s_mov_b32 s3, 0x8c08c09
	v_add_co_u32_e32 v1, vcc, v22, v1
	v_addc_co_u32_e32 v2, vcc, v40, v2, vcc
	s_movk_i32 s2, 0x3a8
	s_waitcnt vmcnt(5) lgkmcnt(11)
	v_mul_f16_sdwa v3, v23, v24 dst_sel:DWORD dst_unused:UNUSED_PAD src0_sel:DWORD src1_sel:WORD_1
	v_mul_f16_sdwa v20, v19, v24 dst_sel:DWORD dst_unused:UNUSED_PAD src0_sel:DWORD src1_sel:WORD_1
	s_waitcnt vmcnt(4) lgkmcnt(10)
	v_mul_f16_sdwa v21, v30, v25 dst_sel:DWORD dst_unused:UNUSED_PAD src0_sel:DWORD src1_sel:WORD_1
	v_mul_f16_sdwa v41, v18, v25 dst_sel:DWORD dst_unused:UNUSED_PAD src0_sel:DWORD src1_sel:WORD_1
	s_waitcnt vmcnt(1) lgkmcnt(7)
	v_mul_f16_sdwa v46, v33, v28 dst_sel:DWORD dst_unused:UNUSED_PAD src0_sel:DWORD src1_sel:WORD_1
	s_waitcnt vmcnt(0)
	v_mul_f16_sdwa v49, v14, v29 dst_sel:DWORD dst_unused:UNUSED_PAD src0_sel:DWORD src1_sel:WORD_1
	v_mul_f16_sdwa v47, v15, v28 dst_sel:DWORD dst_unused:UNUSED_PAD src0_sel:DWORD src1_sel:WORD_1
	v_fma_f16 v3, v19, v24, -v3
	v_fma_f16 v19, v24, v23, v20
	v_fma_f16 v18, v18, v25, -v21
	v_fma_f16 v20, v25, v30, v41
	v_fma_f16 v15, v15, v28, -v46
	s_waitcnt lgkmcnt(6)
	v_fma_f16 v25, v29, v34, v49
	v_mul_f16_sdwa v42, v31, v26 dst_sel:DWORD dst_unused:UNUSED_PAD src0_sel:DWORD src1_sel:WORD_1
	v_mul_f16_sdwa v43, v17, v26 dst_sel:DWORD dst_unused:UNUSED_PAD src0_sel:DWORD src1_sel:WORD_1
	;; [unrolled: 1-line block ×3, first 2 shown]
	v_fma_f16 v24, v28, v33, v47
	v_sub_f16_e32 v15, v9, v15
	s_waitcnt lgkmcnt(0)
	v_sub_f16_e32 v25, v4, v25
	v_add_u32_e32 v33, 0x3a8, v0
	v_fma_f16 v17, v17, v26, -v42
	v_fma_f16 v21, v26, v31, v43
	v_fma_f16 v14, v14, v29, -v48
	v_sub_f16_e32 v26, v13, v3
	v_fma_f16 v31, v9, 2.0, -v15
	v_fma_f16 v9, v4, 2.0, -v25
	v_mad_u64_u32 v[3:4], s[0:1], s12, v33, 0
	v_sub_f16_e32 v14, v8, v14
	v_fma_f16 v8, v8, 2.0, -v14
	v_pack_b32_f16 v8, v8, v9
	global_store_dword v[1:2], v8, off
	v_mov_b32_e32 v1, v4
	v_mad_u64_u32 v[1:2], s[0:1], s13, v33, v[1:2]
	v_mad_u64_u32 v[8:9], s[0:1], s12, v7, 0
	v_mov_b32_e32 v4, v1
	v_lshlrev_b64 v[1:2], 2, v[3:4]
	v_mov_b32_e32 v3, v9
	v_mad_u64_u32 v[3:4], s[0:1], s13, v7, v[3:4]
	v_add_co_u32_e32 v1, vcc, v22, v1
	v_addc_co_u32_e32 v2, vcc, v40, v2, vcc
	v_pack_b32_f16 v4, v14, v25
	v_mov_b32_e32 v9, v3
	global_store_dword v[1:2], v4, off
	v_lshlrev_b64 v[1:2], 2, v[8:9]
	v_add_u32_e32 v7, 0x444, v0
	v_lshrrev_b32_e32 v8, 3, v6
	v_mad_u64_u32 v[3:4], s[0:1], s12, v7, 0
	v_mul_hi_u32 v9, v8, s3
	v_mul_f16_sdwa v45, v16, v27 dst_sel:DWORD dst_unused:UNUSED_PAD src0_sel:DWORD src1_sel:WORD_1
	v_mad_u64_u32 v[7:8], s[0:1], s13, v7, v[4:5]
	v_lshrrev_b32_e32 v4, 2, v9
	v_mad_u32_u24 v6, v4, s2, v6
	v_mad_u64_u32 v[8:9], s[0:1], s12, v6, 0
	v_sub_f16_e32 v24, v39, v24
	v_mul_f16_sdwa v44, v32, v27 dst_sel:DWORD dst_unused:UNUSED_PAD src0_sel:DWORD src1_sel:WORD_1
	v_fma_f16 v23, v27, v32, v45
	v_fma_f16 v32, v39, 2.0, -v24
	v_add_co_u32_e32 v1, vcc, v22, v1
	v_addc_co_u32_e32 v2, vcc, v40, v2, vcc
	v_pack_b32_f16 v14, v31, v32
	v_mov_b32_e32 v4, v7
	global_store_dword v[1:2], v14, off
	v_lshlrev_b64 v[1:2], 2, v[3:4]
	v_mov_b32_e32 v3, v9
	v_mad_u64_u32 v[3:4], s[0:1], s13, v6, v[3:4]
	v_add_co_u32_e32 v1, vcc, v22, v1
	v_addc_co_u32_e32 v2, vcc, v40, v2, vcc
	v_pack_b32_f16 v4, v15, v24
	v_mov_b32_e32 v9, v3
	v_add_u32_e32 v6, 0x3a8, v6
	v_lshrrev_b32_e32 v7, 3, v5
	global_store_dword v[1:2], v4, off
	v_lshlrev_b64 v[1:2], 2, v[8:9]
	v_mad_u64_u32 v[3:4], s[0:1], s12, v6, 0
	v_mul_hi_u32 v8, v7, s3
	v_fma_f16 v16, v16, v27, -v44
	v_mad_u64_u32 v[6:7], s[0:1], s13, v6, v[4:5]
	v_lshrrev_b32_e32 v4, 2, v8
	v_mad_u32_u24 v5, v4, s2, v5
	v_mad_u64_u32 v[7:8], s[0:1], s12, v5, 0
	v_sub_f16_e32 v16, v10, v16
	v_sub_f16_e32 v23, v38, v23
	v_fma_f16 v10, v10, 2.0, -v16
	v_fma_f16 v30, v38, 2.0, -v23
	v_add_co_u32_e32 v1, vcc, v22, v1
	v_addc_co_u32_e32 v2, vcc, v40, v2, vcc
	v_pack_b32_f16 v9, v10, v30
	v_mov_b32_e32 v4, v6
	global_store_dword v[1:2], v9, off
	v_lshlrev_b64 v[1:2], 2, v[3:4]
	v_mov_b32_e32 v3, v8
	v_mad_u64_u32 v[3:4], s[0:1], s13, v5, v[3:4]
	v_add_co_u32_e32 v1, vcc, v22, v1
	v_addc_co_u32_e32 v2, vcc, v40, v2, vcc
	v_pack_b32_f16 v4, v16, v23
	v_mov_b32_e32 v8, v3
	v_add_u32_e32 v5, 0x3a8, v5
	v_add_u32_e32 v6, 0x270, v0
	global_store_dword v[1:2], v4, off
	v_lshlrev_b64 v[1:2], 2, v[7:8]
	v_mad_u64_u32 v[3:4], s[0:1], s12, v5, 0
	v_lshrrev_b32_e32 v8, 3, v6
	v_mul_hi_u32 v8, v8, s3
	v_mad_u64_u32 v[4:5], s[0:1], s13, v5, v[4:5]
	v_sub_f16_e32 v17, v11, v17
	v_lshrrev_b32_e32 v5, 2, v8
	v_mad_u32_u24 v8, v5, s2, v6
	v_mad_u64_u32 v[5:6], s[0:1], s12, v8, 0
	v_sub_f16_e32 v21, v37, v21
	v_fma_f16 v11, v11, 2.0, -v17
	v_fma_f16 v29, v37, 2.0, -v21
	v_add_co_u32_e32 v1, vcc, v22, v1
	v_addc_co_u32_e32 v2, vcc, v40, v2, vcc
	v_pack_b32_f16 v7, v11, v29
	global_store_dword v[1:2], v7, off
	v_lshlrev_b64 v[1:2], 2, v[3:4]
	v_mov_b32_e32 v3, v6
	v_mad_u64_u32 v[3:4], s[0:1], s13, v8, v[3:4]
	v_add_co_u32_e32 v1, vcc, v22, v1
	v_addc_co_u32_e32 v2, vcc, v40, v2, vcc
	v_pack_b32_f16 v4, v17, v21
	v_mov_b32_e32 v6, v3
	global_store_dword v[1:2], v4, off
	v_lshlrev_b64 v[1:2], 2, v[5:6]
	v_add_u32_e32 v5, 0x3a8, v8
	v_mad_u64_u32 v[3:4], s[0:1], s12, v5, 0
	v_sub_f16_e32 v18, v12, v18
	v_sub_f16_e32 v20, v36, v20
	v_mad_u64_u32 v[4:5], s[0:1], s13, v5, v[4:5]
	v_add_u32_e32 v5, 0x30c, v0
	v_lshrrev_b32_e32 v0, 3, v5
	v_mul_hi_u32 v7, v0, s3
	v_fma_f16 v12, v12, 2.0, -v18
	v_fma_f16 v28, v36, 2.0, -v20
	v_add_co_u32_e32 v1, vcc, v22, v1
	v_addc_co_u32_e32 v2, vcc, v40, v2, vcc
	v_pack_b32_f16 v6, v12, v28
	global_store_dword v[1:2], v6, off
	v_lshrrev_b32_e32 v2, 2, v7
	v_mad_u32_u24 v5, v2, s2, v5
	v_lshlrev_b64 v[0:1], 2, v[3:4]
	v_mad_u64_u32 v[2:3], s[0:1], s12, v5, 0
	v_add_u32_e32 v7, 0x3a8, v5
	v_add_co_u32_e32 v0, vcc, v22, v0
	v_mad_u64_u32 v[3:4], s[0:1], s13, v5, v[3:4]
	v_mad_u64_u32 v[4:5], s[0:1], s12, v7, 0
	v_addc_co_u32_e32 v1, vcc, v40, v1, vcc
	v_pack_b32_f16 v6, v18, v20
	global_store_dword v[0:1], v6, off
	v_lshlrev_b64 v[0:1], 2, v[2:3]
	v_mov_b32_e32 v2, v5
	v_mad_u64_u32 v[2:3], s[0:1], s13, v7, v[2:3]
	v_sub_f16_e32 v19, v35, v19
	v_fma_f16 v13, v13, 2.0, -v26
	v_fma_f16 v27, v35, 2.0, -v19
	v_add_co_u32_e32 v0, vcc, v22, v0
	v_addc_co_u32_e32 v1, vcc, v40, v1, vcc
	v_pack_b32_f16 v3, v13, v27
	v_mov_b32_e32 v5, v2
	global_store_dword v[0:1], v3, off
	v_lshlrev_b64 v[0:1], 2, v[4:5]
	v_pack_b32_f16 v2, v26, v19
	v_add_co_u32_e32 v0, vcc, v22, v0
	v_addc_co_u32_e32 v1, vcc, v40, v1, vcc
	global_store_dword v[0:1], v2, off
.LBB0_17:
	s_endpgm
	.section	.rodata,"a",@progbits
	.p2align	6, 0x0
	.amdhsa_kernel fft_rtc_fwd_len1872_factors_13_3_4_6_2_wgs_156_tpt_156_halfLds_half_ip_CI_sbrr_dirReg
		.amdhsa_group_segment_fixed_size 0
		.amdhsa_private_segment_fixed_size 0
		.amdhsa_kernarg_size 88
		.amdhsa_user_sgpr_count 6
		.amdhsa_user_sgpr_private_segment_buffer 1
		.amdhsa_user_sgpr_dispatch_ptr 0
		.amdhsa_user_sgpr_queue_ptr 0
		.amdhsa_user_sgpr_kernarg_segment_ptr 1
		.amdhsa_user_sgpr_dispatch_id 0
		.amdhsa_user_sgpr_flat_scratch_init 0
		.amdhsa_user_sgpr_private_segment_size 0
		.amdhsa_uses_dynamic_stack 0
		.amdhsa_system_sgpr_private_segment_wavefront_offset 0
		.amdhsa_system_sgpr_workgroup_id_x 1
		.amdhsa_system_sgpr_workgroup_id_y 0
		.amdhsa_system_sgpr_workgroup_id_z 0
		.amdhsa_system_sgpr_workgroup_info 0
		.amdhsa_system_vgpr_workitem_id 0
		.amdhsa_next_free_vgpr 61
		.amdhsa_next_free_sgpr 28
		.amdhsa_reserve_vcc 1
		.amdhsa_reserve_flat_scratch 0
		.amdhsa_float_round_mode_32 0
		.amdhsa_float_round_mode_16_64 0
		.amdhsa_float_denorm_mode_32 3
		.amdhsa_float_denorm_mode_16_64 3
		.amdhsa_dx10_clamp 1
		.amdhsa_ieee_mode 1
		.amdhsa_fp16_overflow 0
		.amdhsa_exception_fp_ieee_invalid_op 0
		.amdhsa_exception_fp_denorm_src 0
		.amdhsa_exception_fp_ieee_div_zero 0
		.amdhsa_exception_fp_ieee_overflow 0
		.amdhsa_exception_fp_ieee_underflow 0
		.amdhsa_exception_fp_ieee_inexact 0
		.amdhsa_exception_int_div_zero 0
	.end_amdhsa_kernel
	.text
.Lfunc_end0:
	.size	fft_rtc_fwd_len1872_factors_13_3_4_6_2_wgs_156_tpt_156_halfLds_half_ip_CI_sbrr_dirReg, .Lfunc_end0-fft_rtc_fwd_len1872_factors_13_3_4_6_2_wgs_156_tpt_156_halfLds_half_ip_CI_sbrr_dirReg
                                        ; -- End function
	.section	.AMDGPU.csdata,"",@progbits
; Kernel info:
; codeLenInByte = 9732
; NumSgprs: 32
; NumVgprs: 61
; ScratchSize: 0
; MemoryBound: 0
; FloatMode: 240
; IeeeMode: 1
; LDSByteSize: 0 bytes/workgroup (compile time only)
; SGPRBlocks: 3
; VGPRBlocks: 15
; NumSGPRsForWavesPerEU: 32
; NumVGPRsForWavesPerEU: 61
; Occupancy: 4
; WaveLimiterHint : 1
; COMPUTE_PGM_RSRC2:SCRATCH_EN: 0
; COMPUTE_PGM_RSRC2:USER_SGPR: 6
; COMPUTE_PGM_RSRC2:TRAP_HANDLER: 0
; COMPUTE_PGM_RSRC2:TGID_X_EN: 1
; COMPUTE_PGM_RSRC2:TGID_Y_EN: 0
; COMPUTE_PGM_RSRC2:TGID_Z_EN: 0
; COMPUTE_PGM_RSRC2:TIDIG_COMP_CNT: 0
	.type	__hip_cuid_33cdb9e917970170,@object ; @__hip_cuid_33cdb9e917970170
	.section	.bss,"aw",@nobits
	.globl	__hip_cuid_33cdb9e917970170
__hip_cuid_33cdb9e917970170:
	.byte	0                               ; 0x0
	.size	__hip_cuid_33cdb9e917970170, 1

	.ident	"AMD clang version 19.0.0git (https://github.com/RadeonOpenCompute/llvm-project roc-6.4.0 25133 c7fe45cf4b819c5991fe208aaa96edf142730f1d)"
	.section	".note.GNU-stack","",@progbits
	.addrsig
	.addrsig_sym __hip_cuid_33cdb9e917970170
	.amdgpu_metadata
---
amdhsa.kernels:
  - .args:
      - .actual_access:  read_only
        .address_space:  global
        .offset:         0
        .size:           8
        .value_kind:     global_buffer
      - .offset:         8
        .size:           8
        .value_kind:     by_value
      - .actual_access:  read_only
        .address_space:  global
        .offset:         16
        .size:           8
        .value_kind:     global_buffer
      - .actual_access:  read_only
        .address_space:  global
        .offset:         24
        .size:           8
        .value_kind:     global_buffer
      - .offset:         32
        .size:           8
        .value_kind:     by_value
      - .actual_access:  read_only
        .address_space:  global
        .offset:         40
        .size:           8
        .value_kind:     global_buffer
      - .actual_access:  read_only
        .address_space:  global
        .offset:         48
        .size:           8
        .value_kind:     global_buffer
      - .offset:         56
        .size:           4
        .value_kind:     by_value
      - .actual_access:  read_only
        .address_space:  global
        .offset:         64
        .size:           8
        .value_kind:     global_buffer
      - .actual_access:  read_only
        .address_space:  global
        .offset:         72
        .size:           8
        .value_kind:     global_buffer
      - .address_space:  global
        .offset:         80
        .size:           8
        .value_kind:     global_buffer
    .group_segment_fixed_size: 0
    .kernarg_segment_align: 8
    .kernarg_segment_size: 88
    .language:       OpenCL C
    .language_version:
      - 2
      - 0
    .max_flat_workgroup_size: 156
    .name:           fft_rtc_fwd_len1872_factors_13_3_4_6_2_wgs_156_tpt_156_halfLds_half_ip_CI_sbrr_dirReg
    .private_segment_fixed_size: 0
    .sgpr_count:     32
    .sgpr_spill_count: 0
    .symbol:         fft_rtc_fwd_len1872_factors_13_3_4_6_2_wgs_156_tpt_156_halfLds_half_ip_CI_sbrr_dirReg.kd
    .uniform_work_group_size: 1
    .uses_dynamic_stack: false
    .vgpr_count:     61
    .vgpr_spill_count: 0
    .wavefront_size: 64
amdhsa.target:   amdgcn-amd-amdhsa--gfx906
amdhsa.version:
  - 1
  - 2
...

	.end_amdgpu_metadata
